;; amdgpu-corpus repo=ROCm/aiter kind=harvested arch=n/a opt=n/a

/root/src/amdgpu-assembly/repos/ROCm__aiter/hsa/gfx950/fmha_v3_bwd/bwd_hd192_odo_bf16.co:	file format elf64-amdgpu

Disassembly of section .text:

0000000000002400 <_ZN5aiter23fmha_bwd_hd192_odo_bf16E>:
	s_and_b32 s1, s1, 0xffff                                   // 000000002400: 8601FF01 0000FFFF
	s_load_dwordx2 s[12:13], s[0:1], 0x0                       // 000000002408: C0060300 00000000
	s_load_dwordx2 s[20:21], s[0:1], 0x10                      // 000000002410: C0060500 00000010
	s_load_dwordx2 s[16:17], s[0:1], 0x20                      // 000000002418: C0060400 00000020
	s_load_dword s6, s[0:1], 0x30                              // 000000002420: C0020180 00000030
	s_load_dword s8, s[0:1], 0x50                              // 000000002428: C0020200 00000050
	s_load_dword s50, s[0:1], 0x60                             // 000000002430: C0020C80 00000060
	s_load_dword s52, s[0:1], 0x80                             // 000000002438: C0020D00 00000080
	s_load_dword s9, s[0:1], 0x90                              // 000000002440: C0020240 00000090
	s_load_dword s11, s[0:1], 0xb0                             // 000000002448: C00202C0 000000B0
	s_load_dword s37, s[0:1], 0xd0                             // 000000002450: C0020940 000000D0
	s_load_dword s7, s[0:1], 0x40                              // 000000002458: C00201C0 00000040
	s_load_dword s51, s[0:1], 0x70                             // 000000002460: C0020CC0 00000070
	s_load_dword s10, s[0:1], 0xa0                             // 000000002468: C0020280 000000A0
	s_load_dword s39, s[0:1], 0xc0                             // 000000002470: C00209C0 000000C0
	v_lshrrev_b32_e32 v1, 10, v0                               // 000000002478: 2002008A
	v_lshrrev_b32_e32 v2, 10, v1                               // 00000000247C: 2004028A
	v_and_b32_e32 v2, 0x3ff, v2                                // 000000002480: 260404FF 000003FF
	v_and_b32_e32 v1, 0x3ff, v1                                // 000000002488: 260202FF 000003FF
	v_and_b32_e32 v0, 0x3ff, v0                                // 000000002490: 260000FF 000003FF
	v_lshrrev_b32_e32 v3, 6, v0                                // 000000002498: 20060086
	v_and_b32_e32 v0, 63, v0                                   // 00000000249C: 260000BF
	s_mov_b32 s2, s2                                           // 0000000024A0: BE820002
	s_mov_b32 s3, s3                                           // 0000000024A4: BE830003
	s_mov_b32 s4, s4                                           // 0000000024A8: BE840004
	v_readfirstlane_b32 s30, v3                                // 0000000024AC: 7E3C0503
	s_waitcnt lgkmcnt(0)                                       // 0000000024B0: BF8CC07F
	s_mov_b32 s15, 0x20000                                     // 0000000024B4: BE8F00FF 00020000
	s_mov_b32 s19, 0x20000                                     // 0000000024BC: BE9300FF 00020000
	s_mov_b32 s23, 0x20000                                     // 0000000024C4: BE9700FF 00020000
	s_and_b32 s13, s13, 0xffff                                 // 0000000024CC: 860DFF0D 0000FFFF
	s_and_b32 s17, s17, 0xffff                                 // 0000000024D4: 8611FF11 0000FFFF
	s_and_b32 s21, s21, 0xffff                                 // 0000000024DC: 8615FF15 0000FFFF
	s_or_b32 s13, s13, 0x40000                                 // 0000000024E4: 870DFF0D 00040000
	s_or_b32 s17, s17, 0x40000                                 // 0000000024EC: 8711FF11 00040000
	s_or_b32 s21, s21, 0x40000                                 // 0000000024F4: 8715FF15 00040000
	v_mov_b32_e32 v47, 0                                       // 0000000024FC: 7E5E0280
	s_mov_b32 s24, s12                                         // 000000002500: BE98000C
	s_mov_b32 s25, s13                                         // 000000002504: BE99000D
	s_mov_b32 s26, s16                                         // 000000002508: BE9A0010
	s_mov_b32 s27, s17                                         // 00000000250C: BE9B0011
	s_mov_b32 s28, s20                                         // 000000002510: BE9C0014
	s_mov_b32 s29, s21                                         // 000000002514: BE9D0015
	s_mul_i32 s31, s8, 0x80                                    // 000000002518: 921FFF08 00000080
	s_mul_i32 s31, s2, s31                                     // 000000002520: 921F1F02
	s_mul_i32 s32, s3, s6                                      // 000000002524: 92200603
	s_mul_i32 s33, s4, s7                                      // 000000002528: 92210704
	s_mul_hi_u32 s35, s4, s7                                   // 00000000252C: 96230704
	s_add_u32 s34, s31, s32                                    // 000000002530: 8022201F
	s_add_u32 s34, s34, s33                                    // 000000002534: 80222122
	s_addc_u32 s35, s35, 0                                     // 000000002538: 82238023
	s_mul_i32 s32, s39, s8                                     // 00000000253C: 92200827
	s_sub_i32 s32, s32, s31                                    // 000000002540: 81A01F20
	s_mov_b32 s14, s32                                         // 000000002544: BE8E0020
	s_add_u32 s12, s34, s24                                    // 000000002548: 800C1822
	s_addc_u32 s13, s35, s25                                   // 00000000254C: 820D1923
	s_mul_i32 s31, s52, 0x80                                   // 000000002550: 921FFF34 00000080
	s_mul_i32 s31, s2, s31                                     // 000000002558: 921F1F02
	s_mul_i32 s32, s3, s50                                     // 00000000255C: 92203203
	s_mul_i32 s33, s4, s51                                     // 000000002560: 92213304
	s_mul_hi_u32 s35, s4, s51                                  // 000000002564: 96233304
	s_add_u32 s53, s31, s32                                    // 000000002568: 8035201F
	s_add_u32 s53, s53, s33                                    // 00000000256C: 80352135
	s_addc_u32 s35, s35, 0                                     // 000000002570: 82238023
	s_mul_i32 s32, s39, s52                                    // 000000002574: 92203427
	s_sub_i32 s32, s32, s31                                    // 000000002578: 81A01F20
	s_mov_b32 s22, s32                                         // 00000000257C: BE960020
	s_add_u32 s20, s53, s28                                    // 000000002580: 80141C35
	s_addc_u32 s21, s35, s29                                   // 000000002584: 82151D23
	s_mul_i32 s31, s11, 0x80                                   // 000000002588: 921FFF0B 00000080
	s_mul_i32 s31, s2, s31                                     // 000000002590: 921F1F02
	s_mul_i32 s32, s3, s9                                      // 000000002594: 92200903
	s_add_u32 s35, s31, s32                                    // 000000002598: 8023201F
	s_mul_i32 s32, s39, s11                                    // 00000000259C: 92200B27
	s_sub_i32 s32, s32, s31                                    // 0000000025A0: 81A01F20
	s_mov_b32 s18, s32                                         // 0000000025A4: BE920020
	s_add_u32 s16, s35, s26                                    // 0000000025A8: 80101A23
	s_addc_u32 s17, 0, s27                                     // 0000000025AC: 82111B80
	s_mul_i32 s31, s4, s10                                     // 0000000025B0: 921F0A04
	s_mul_hi_u32 s32, s4, s10                                  // 0000000025B4: 96200A04
	s_and_b32 s32, s32, 0xffff                                 // 0000000025B8: 8620FF20 0000FFFF
	s_add_u32 s16, s16, s31                                    // 0000000025C0: 80101F10
	s_addc_u32 s17, s17, s32                                   // 0000000025C4: 82112011
	v_readfirstlane_b32 s30, v3                                // 0000000025C8: 7E3C0503
	v_lshrrev_b32_e32 v36, 3, v0                               // 0000000025CC: 20480083
	v_mul_i32_i24_e32 v36, s8, v36                             // 0000000025D0: 0C484808
	v_and_b32_e32 v37, 7, v0                                   // 0000000025D4: 264A0087
	v_mul_i32_i24_e32 v37, 16, v37                             // 0000000025D8: 0C4A4A90
	v_add_u32_e32 v37, v36, v37                                // 0000000025DC: 684A4B24
	v_mov_b32_e32 v4, v37                                      // 0000000025E0: 7E080325
	s_mul_i32 s31, 32, s8                                      // 0000000025E4: 921F08A0
	s_mul_i32 s31, s30, s31                                    // 0000000025E8: 921F1F1E
	v_add_u32_e32 v4, s31, v4                                  // 0000000025EC: 6808081F
	v_lshrrev_b32_e32 v36, 3, v0                               // 0000000025F0: 20480083
	v_mul_i32_i24_e32 v36, s52, v36                            // 0000000025F4: 0C484834
	v_and_b32_e32 v37, 7, v0                                   // 0000000025F8: 264A0087
	v_mul_i32_i24_e32 v37, 16, v37                             // 0000000025FC: 0C4A4A90
	v_add_u32_e32 v37, v36, v37                                // 000000002600: 684A4B24
	v_mov_b32_e32 v45, v37                                     // 000000002604: 7E5A0325
	s_mul_i32 s31, 32, s52                                     // 000000002608: 921F34A0
	s_mul_i32 s31, s30, s31                                    // 00000000260C: 921F1F1E
	v_add_u32_e32 v45, s31, v45                                // 000000002610: 685A5A1F
	v_lshrrev_b32_e32 v5, 3, v0                                // 000000002614: 200A0083
	v_mul_i32_i24_e32 v5, s11, v5                              // 000000002618: 0C0A0A0B
	v_and_b32_e32 v36, 7, v0                                   // 00000000261C: 26480087
	v_lshrrev_b32_e32 v36, 1, v36                              // 000000002620: 20484881
	v_lshlrev_b32_e32 v36, 5, v36                              // 000000002624: 24484885
	v_add_u32_e32 v5, v5, v36                                  // 000000002628: 680A4905
	s_mul_i32 s31, 32, s11                                     // 00000000262C: 921F0BA0
	s_mul_i32 s31, s30, s31                                    // 000000002630: 921F1F1E
	v_add_u32_e32 v5, s31, v5                                  // 000000002634: 680A0A1F
	v_and_b32_e32 v36, 7, v0                                   // 000000002638: 26480087
	v_lshlrev_b32_e32 v36, 3, v36                              // 00000000263C: 24484883
	s_sub_i32 s31, s37, 0x80                                   // 000000002640: 819FFF25 00000080
	v_cmp_lt_u32_e64 s[36:37], v36, s31                        // 000000002648: D0C90024 00003F24
	v_and_b32_e32 v36, 1, v0                                   // 000000002650: 26480081
	v_cmp_eq_u32_e64 s[38:39], v36, 0                          // 000000002654: D0CA0026 00010124
	v_lshlrev_b32_e32 v32, 2, v0                               // 00000000265C: 24400082
	s_lshl_b32 s31, s30, 8                                     // 000000002660: 8E1F881E
	v_add_u32_e32 v32, s31, v32                                // 000000002664: 6840401F
	v_lshrrev_b32_e32 v34, 3, v0                               // 000000002668: 20440083
	v_mul_i32_i24_e32 v34, 32, v34                             // 00000000266C: 0C4444A0
	v_add_u32_e32 v34, s31, v34                                // 000000002670: 6844441F
	v_add_u32_e32 v35, 16, v34                                 // 000000002674: 68464490
	v_mov_b32_e32 v30, 0                                       // 000000002678: 7E3C0280
	s_mul_i32 s31, s8, 0                                       // 00000000267C: 921F8008
	s_lshl_b32 s31, s31, 3                                     // 000000002680: 8E1F831F
	v_add_u32_e32 v31, s31, v4                                 // 000000002684: 683E081F
	s_mul_i32 s31, s52, 0                                      // 000000002688: 921F8034
	s_lshl_b32 s31, s31, 3                                     // 00000000268C: 8E1F831F
	v_add_u32_e32 v46, s31, v45                                // 000000002690: 685C5A1F
	v_and_b32_e32 v44, 7, v0                                   // 000000002694: 26580087
	v_cmp_eq_u32_e64 s[48:49], v44, 0                          // 000000002698: D0CA0030 0001012C
	buffer_load_dwordx4 v[18:21], v46, s[20:23], 0 offen       // 0000000026A0: E05C1000 8005122E
	buffer_load_dwordx4 v[6:9], v31, s[12:15], 0 offen         // 0000000026A8: E05C1000 8003061F
	v_add_u32_e32 v31, 0x80, v31                               // 0000000026B0: 683E3EFF 00000080
	v_add_u32_e32 v46, 0x80, v46                               // 0000000026B8: 685C5CFF 00000080
	s_waitcnt vmcnt(0) expcnt(0) lgkmcnt(0)                    // 0000000026C0: BF8C0000
	s_barrier                                                  // 0000000026C4: BF8A0000
	buffer_load_dwordx4 v[22:25], v46, s[20:23], 0 offen       // 0000000026C8: E05C1000 8005162E
	buffer_load_dwordx4 v[10:13], v31, s[12:15], 0 offen       // 0000000026D0: E05C1000 80030A1F
	v_add_u32_e32 v31, 0x80, v31                               // 0000000026D8: 683E3EFF 00000080
	v_add_u32_e32 v46, 0x80, v46                               // 0000000026E0: 685C5CFF 00000080
	v_mov_b32_e32 v40, 0                                       // 0000000026E8: 7E500280
	v_and_b32_e32 v36, 0xffff, v6                              // 0000000026EC: 26480CFF 0000FFFF
	v_lshrrev_b32_e32 v37, 16, v6                              // 0000000026F4: 204A0C90
	v_and_b32_e32 v38, 0xffff, v18                             // 0000000026F8: 264C24FF 0000FFFF
	v_lshrrev_b32_e32 v39, 16, v18                             // 000000002700: 204E2490
	v_cvt_f32_bf16_e32 v36, v36                                // 000000002704: 7E48B724
	v_cvt_f32_bf16_e32 v38, v38                                // 000000002708: 7E4CB726
	v_cvt_f32_bf16_e32 v37, v37                                // 00000000270C: 7E4AB725
	v_cvt_f32_bf16_e32 v39, v39                                // 000000002710: 7E4EB727
	v_fma_f32 v40, v36, v38, v40                               // 000000002714: D1CB0028 04A24D24
	v_fma_f32 v40, v37, v39, v40                               // 00000000271C: D1CB0028 04A24F25
	v_and_b32_e32 v36, 0xffff, v7                              // 000000002724: 26480EFF 0000FFFF
	v_lshrrev_b32_e32 v37, 16, v7                              // 00000000272C: 204A0E90
	v_and_b32_e32 v38, 0xffff, v19                             // 000000002730: 264C26FF 0000FFFF
	v_lshrrev_b32_e32 v39, 16, v19                             // 000000002738: 204E2690
	v_cvt_f32_bf16_e32 v36, v36                                // 00000000273C: 7E48B724
	v_cvt_f32_bf16_e32 v38, v38                                // 000000002740: 7E4CB726
	v_cvt_f32_bf16_e32 v37, v37                                // 000000002744: 7E4AB725
	v_cvt_f32_bf16_e32 v39, v39                                // 000000002748: 7E4EB727
	v_fma_f32 v40, v36, v38, v40                               // 00000000274C: D1CB0028 04A24D24
	v_fma_f32 v40, v37, v39, v40                               // 000000002754: D1CB0028 04A24F25
	v_and_b32_e32 v36, 0xffff, v8                              // 00000000275C: 264810FF 0000FFFF
	v_lshrrev_b32_e32 v37, 16, v8                              // 000000002764: 204A1090
	v_and_b32_e32 v38, 0xffff, v20                             // 000000002768: 264C28FF 0000FFFF
	v_lshrrev_b32_e32 v39, 16, v20                             // 000000002770: 204E2890
	v_cvt_f32_bf16_e32 v36, v36                                // 000000002774: 7E48B724
	v_cvt_f32_bf16_e32 v38, v38                                // 000000002778: 7E4CB726
	v_cvt_f32_bf16_e32 v37, v37                                // 00000000277C: 7E4AB725
	v_cvt_f32_bf16_e32 v39, v39                                // 000000002780: 7E4EB727
	v_fma_f32 v40, v36, v38, v40                               // 000000002784: D1CB0028 04A24D24
	v_fma_f32 v40, v37, v39, v40                               // 00000000278C: D1CB0028 04A24F25
	v_and_b32_e32 v36, 0xffff, v9                              // 000000002794: 264812FF 0000FFFF
	v_lshrrev_b32_e32 v37, 16, v9                              // 00000000279C: 204A1290
	v_and_b32_e32 v38, 0xffff, v21                             // 0000000027A0: 264C2AFF 0000FFFF
	v_lshrrev_b32_e32 v39, 16, v21                             // 0000000027A8: 204E2A90
	v_cvt_f32_bf16_e32 v36, v36                                // 0000000027AC: 7E48B724
	v_cvt_f32_bf16_e32 v38, v38                                // 0000000027B0: 7E4CB726
	v_cvt_f32_bf16_e32 v37, v37                                // 0000000027B4: 7E4AB725
	v_cvt_f32_bf16_e32 v39, v39                                // 0000000027B8: 7E4EB727
	v_fma_f32 v40, v36, v38, v40                               // 0000000027BC: D1CB0028 04A24D24
	v_fma_f32 v40, v37, v39, v40                               // 0000000027C4: D1CB0028 04A24F25
	ds_write_b32 v32, v40                                      // 0000000027CC: D81A0000 00002820
	s_waitcnt lgkmcnt(0)                                       // 0000000027D4: BF8CC07F
	s_mov_b64 exec, s[48:49]                                   // 0000000027D8: BEFE0130
	ds_read_b128 v[36:39], v34                                 // 0000000027DC: D9FE0000 24000022
	s_waitcnt lgkmcnt(0)                                       // 0000000027E4: BF8CC07F
	ds_read_b128 v[40:43], v35                                 // 0000000027E8: D9FE0000 28000023
	s_waitcnt lgkmcnt(0)                                       // 0000000027F0: BF8CC07F
	v_add_f32_e32 v30, v36, v30                                // 0000000027F4: 023C3D24
	v_add_f32_e32 v30, v37, v30                                // 0000000027F8: 023C3D25
	v_add_f32_e32 v30, v38, v30                                // 0000000027FC: 023C3D26
	v_add_f32_e32 v30, v39, v30                                // 000000002800: 023C3D27
	v_add_f32_e32 v30, v40, v30                                // 000000002804: 023C3D28
	v_add_f32_e32 v30, v41, v30                                // 000000002808: 023C3D29
	v_add_f32_e32 v30, v42, v30                                // 00000000280C: 023C3D2A
	v_add_f32_e32 v30, v43, v30                                // 000000002810: 023C3D2B
	s_mov_b64 exec, -1                                         // 000000002814: BEFE01C1
	s_waitcnt vmcnt(0) expcnt(0) lgkmcnt(0)                    // 000000002818: BF8C0000
	s_barrier                                                  // 00000000281C: BF8A0000
	v_mov_b32_e32 v26, 0                                       // 000000002820: 7E340280
	v_mov_b32_e32 v14, 0                                       // 000000002824: 7E1C0280
	v_mov_b32_e32 v27, 0                                       // 000000002828: 7E360280
	v_mov_b32_e32 v15, 0                                       // 00000000282C: 7E1E0280
	v_mov_b32_e32 v28, 0                                       // 000000002830: 7E380280
	v_mov_b32_e32 v16, 0                                       // 000000002834: 7E200280
	v_mov_b32_e32 v29, 0                                       // 000000002838: 7E3A0280
	v_mov_b32_e32 v17, 0                                       // 00000000283C: 7E220280
	s_mov_b64 exec, s[36:37]                                   // 000000002840: BEFE0124
	buffer_load_dwordx4 v[26:29], v46, s[20:23], 0 offen       // 000000002844: E05C1000 80051A2E
	buffer_load_dwordx4 v[14:17], v31, s[12:15], 0 offen       // 00000000284C: E05C1000 80030E1F
	s_mov_b64 exec, -1                                         // 000000002854: BEFE01C1
	v_add_u32_e32 v31, 0x80, v31                               // 000000002858: 683E3EFF 00000080
	v_add_u32_e32 v46, 0x80, v46                               // 000000002860: 685C5CFF 00000080
	v_mov_b32_e32 v40, 0                                       // 000000002868: 7E500280
	v_and_b32_e32 v36, 0xffff, v10                             // 00000000286C: 264814FF 0000FFFF
	v_lshrrev_b32_e32 v37, 16, v10                             // 000000002874: 204A1490
	v_and_b32_e32 v38, 0xffff, v22                             // 000000002878: 264C2CFF 0000FFFF
	v_lshrrev_b32_e32 v39, 16, v22                             // 000000002880: 204E2C90
	v_cvt_f32_bf16_e32 v36, v36                                // 000000002884: 7E48B724
	v_cvt_f32_bf16_e32 v38, v38                                // 000000002888: 7E4CB726
	v_cvt_f32_bf16_e32 v37, v37                                // 00000000288C: 7E4AB725
	v_cvt_f32_bf16_e32 v39, v39                                // 000000002890: 7E4EB727
	v_fma_f32 v40, v36, v38, v40                               // 000000002894: D1CB0028 04A24D24
	v_fma_f32 v40, v37, v39, v40                               // 00000000289C: D1CB0028 04A24F25
	v_and_b32_e32 v36, 0xffff, v11                             // 0000000028A4: 264816FF 0000FFFF
	v_lshrrev_b32_e32 v37, 16, v11                             // 0000000028AC: 204A1690
	v_and_b32_e32 v38, 0xffff, v23                             // 0000000028B0: 264C2EFF 0000FFFF
	v_lshrrev_b32_e32 v39, 16, v23                             // 0000000028B8: 204E2E90
	v_cvt_f32_bf16_e32 v36, v36                                // 0000000028BC: 7E48B724
	v_cvt_f32_bf16_e32 v38, v38                                // 0000000028C0: 7E4CB726
	v_cvt_f32_bf16_e32 v37, v37                                // 0000000028C4: 7E4AB725
	v_cvt_f32_bf16_e32 v39, v39                                // 0000000028C8: 7E4EB727
	v_fma_f32 v40, v36, v38, v40                               // 0000000028CC: D1CB0028 04A24D24
	v_fma_f32 v40, v37, v39, v40                               // 0000000028D4: D1CB0028 04A24F25
	v_and_b32_e32 v36, 0xffff, v12                             // 0000000028DC: 264818FF 0000FFFF
	v_lshrrev_b32_e32 v37, 16, v12                             // 0000000028E4: 204A1890
	v_and_b32_e32 v38, 0xffff, v24                             // 0000000028E8: 264C30FF 0000FFFF
	v_lshrrev_b32_e32 v39, 16, v24                             // 0000000028F0: 204E3090
	v_cvt_f32_bf16_e32 v36, v36                                // 0000000028F4: 7E48B724
	v_cvt_f32_bf16_e32 v38, v38                                // 0000000028F8: 7E4CB726
	v_cvt_f32_bf16_e32 v37, v37                                // 0000000028FC: 7E4AB725
	v_cvt_f32_bf16_e32 v39, v39                                // 000000002900: 7E4EB727
	v_fma_f32 v40, v36, v38, v40                               // 000000002904: D1CB0028 04A24D24
	v_fma_f32 v40, v37, v39, v40                               // 00000000290C: D1CB0028 04A24F25
	v_and_b32_e32 v36, 0xffff, v13                             // 000000002914: 26481AFF 0000FFFF
	v_lshrrev_b32_e32 v37, 16, v13                             // 00000000291C: 204A1A90
	v_and_b32_e32 v38, 0xffff, v25                             // 000000002920: 264C32FF 0000FFFF
	v_lshrrev_b32_e32 v39, 16, v25                             // 000000002928: 204E3290
	v_cvt_f32_bf16_e32 v36, v36                                // 00000000292C: 7E48B724
	v_cvt_f32_bf16_e32 v38, v38                                // 000000002930: 7E4CB726
	v_cvt_f32_bf16_e32 v37, v37                                // 000000002934: 7E4AB725
	v_cvt_f32_bf16_e32 v39, v39                                // 000000002938: 7E4EB727
	v_fma_f32 v40, v36, v38, v40                               // 00000000293C: D1CB0028 04A24D24
	v_fma_f32 v40, v37, v39, v40                               // 000000002944: D1CB0028 04A24F25
	ds_write_b32 v32, v40                                      // 00000000294C: D81A0000 00002820
	s_waitcnt lgkmcnt(0)                                       // 000000002954: BF8CC07F
	s_mov_b64 exec, s[48:49]                                   // 000000002958: BEFE0130
	ds_read_b128 v[36:39], v34                                 // 00000000295C: D9FE0000 24000022
	s_waitcnt lgkmcnt(0)                                       // 000000002964: BF8CC07F
	ds_read_b128 v[40:43], v35                                 // 000000002968: D9FE0000 28000023
	s_waitcnt lgkmcnt(0)                                       // 000000002970: BF8CC07F
	v_add_f32_e32 v30, v36, v30                                // 000000002974: 023C3D24
	v_add_f32_e32 v30, v37, v30                                // 000000002978: 023C3D25
	v_add_f32_e32 v30, v38, v30                                // 00000000297C: 023C3D26
	v_add_f32_e32 v30, v39, v30                                // 000000002980: 023C3D27
	v_add_f32_e32 v30, v40, v30                                // 000000002984: 023C3D28
	v_add_f32_e32 v30, v41, v30                                // 000000002988: 023C3D29
	v_add_f32_e32 v30, v42, v30                                // 00000000298C: 023C3D2A
	v_add_f32_e32 v30, v43, v30                                // 000000002990: 023C3D2B
	s_mov_b64 exec, -1                                         // 000000002994: BEFE01C1
	s_waitcnt vmcnt(0) expcnt(0) lgkmcnt(0)                    // 000000002998: BF8C0000
	s_barrier                                                  // 00000000299C: BF8A0000
	v_mov_b32_e32 v40, 0                                       // 0000000029A0: 7E500280
	v_and_b32_e32 v36, 0xffff, v14                             // 0000000029A4: 26481CFF 0000FFFF
	v_lshrrev_b32_e32 v37, 16, v14                             // 0000000029AC: 204A1C90
	v_and_b32_e32 v38, 0xffff, v26                             // 0000000029B0: 264C34FF 0000FFFF
	v_lshrrev_b32_e32 v39, 16, v26                             // 0000000029B8: 204E3490
	v_cvt_f32_bf16_e32 v36, v36                                // 0000000029BC: 7E48B724
	v_cvt_f32_bf16_e32 v38, v38                                // 0000000029C0: 7E4CB726
	v_cvt_f32_bf16_e32 v37, v37                                // 0000000029C4: 7E4AB725
	v_cvt_f32_bf16_e32 v39, v39                                // 0000000029C8: 7E4EB727
	v_fma_f32 v40, v36, v38, v40                               // 0000000029CC: D1CB0028 04A24D24
	v_fma_f32 v40, v37, v39, v40                               // 0000000029D4: D1CB0028 04A24F25
	v_and_b32_e32 v36, 0xffff, v15                             // 0000000029DC: 26481EFF 0000FFFF
	v_lshrrev_b32_e32 v37, 16, v15                             // 0000000029E4: 204A1E90
	v_and_b32_e32 v38, 0xffff, v27                             // 0000000029E8: 264C36FF 0000FFFF
	v_lshrrev_b32_e32 v39, 16, v27                             // 0000000029F0: 204E3690
	v_cvt_f32_bf16_e32 v36, v36                                // 0000000029F4: 7E48B724
	v_cvt_f32_bf16_e32 v38, v38                                // 0000000029F8: 7E4CB726
	v_cvt_f32_bf16_e32 v37, v37                                // 0000000029FC: 7E4AB725
	v_cvt_f32_bf16_e32 v39, v39                                // 000000002A00: 7E4EB727
	v_fma_f32 v40, v36, v38, v40                               // 000000002A04: D1CB0028 04A24D24
	v_fma_f32 v40, v37, v39, v40                               // 000000002A0C: D1CB0028 04A24F25
	v_and_b32_e32 v36, 0xffff, v16                             // 000000002A14: 264820FF 0000FFFF
	v_lshrrev_b32_e32 v37, 16, v16                             // 000000002A1C: 204A2090
	v_and_b32_e32 v38, 0xffff, v28                             // 000000002A20: 264C38FF 0000FFFF
	v_lshrrev_b32_e32 v39, 16, v28                             // 000000002A28: 204E3890
	v_cvt_f32_bf16_e32 v36, v36                                // 000000002A2C: 7E48B724
	v_cvt_f32_bf16_e32 v38, v38                                // 000000002A30: 7E4CB726
	v_cvt_f32_bf16_e32 v37, v37                                // 000000002A34: 7E4AB725
	v_cvt_f32_bf16_e32 v39, v39                                // 000000002A38: 7E4EB727
	v_fma_f32 v40, v36, v38, v40                               // 000000002A3C: D1CB0028 04A24D24
	v_fma_f32 v40, v37, v39, v40                               // 000000002A44: D1CB0028 04A24F25
	v_and_b32_e32 v36, 0xffff, v17                             // 000000002A4C: 264822FF 0000FFFF
	v_lshrrev_b32_e32 v37, 16, v17                             // 000000002A54: 204A2290
	v_and_b32_e32 v38, 0xffff, v29                             // 000000002A58: 264C3AFF 0000FFFF
	v_lshrrev_b32_e32 v39, 16, v29                             // 000000002A60: 204E3A90
	v_cvt_f32_bf16_e32 v36, v36                                // 000000002A64: 7E48B724
	v_cvt_f32_bf16_e32 v38, v38                                // 000000002A68: 7E4CB726
	v_cvt_f32_bf16_e32 v37, v37                                // 000000002A6C: 7E4AB725
	v_cvt_f32_bf16_e32 v39, v39                                // 000000002A70: 7E4EB727
	v_fma_f32 v40, v36, v38, v40                               // 000000002A74: D1CB0028 04A24D24
	v_fma_f32 v40, v37, v39, v40                               // 000000002A7C: D1CB0028 04A24F25
	ds_write_b32 v32, v40                                      // 000000002A84: D81A0000 00002820
	s_waitcnt lgkmcnt(0)                                       // 000000002A8C: BF8CC07F
	s_mov_b64 exec, s[48:49]                                   // 000000002A90: BEFE0130
	ds_read_b128 v[36:39], v34                                 // 000000002A94: D9FE0000 24000022
	s_waitcnt lgkmcnt(0)                                       // 000000002A9C: BF8CC07F
	ds_read_b128 v[40:43], v35                                 // 000000002AA0: D9FE0000 28000023
	s_waitcnt lgkmcnt(0)                                       // 000000002AA8: BF8CC07F
	v_add_f32_e32 v30, v36, v30                                // 000000002AAC: 023C3D24
	v_add_f32_e32 v30, v37, v30                                // 000000002AB0: 023C3D25
	v_add_f32_e32 v30, v38, v30                                // 000000002AB4: 023C3D26
	v_add_f32_e32 v30, v39, v30                                // 000000002AB8: 023C3D27
	v_add_f32_e32 v30, v40, v30                                // 000000002ABC: 023C3D28
	v_add_f32_e32 v30, v41, v30                                // 000000002AC0: 023C3D29
	v_add_f32_e32 v30, v42, v30                                // 000000002AC4: 023C3D2A
	v_add_f32_e32 v30, v43, v30                                // 000000002AC8: 023C3D2B
	s_mov_b64 exec, -1                                         // 000000002ACC: BEFE01C1
	s_mul_i32 s31, s8, 1                                       // 000000002AD0: 921F8108
	s_lshl_b32 s31, s31, 3                                     // 000000002AD4: 8E1F831F
	v_add_u32_e32 v31, s31, v4                                 // 000000002AD8: 683E081F
	s_mul_i32 s31, s52, 1                                      // 000000002ADC: 921F8134
	s_lshl_b32 s31, s31, 3                                     // 000000002AE0: 8E1F831F
	v_add_u32_e32 v46, s31, v45                                // 000000002AE4: 685C5A1F
	v_and_b32_e32 v44, 7, v0                                   // 000000002AE8: 26580087
	v_cmp_eq_u32_e64 s[48:49], v44, 2                          // 000000002AEC: D0CA0030 0001052C
	buffer_load_dwordx4 v[18:21], v46, s[20:23], 0 offen       // 000000002AF4: E05C1000 8005122E
	buffer_load_dwordx4 v[6:9], v31, s[12:15], 0 offen         // 000000002AFC: E05C1000 8003061F
	v_add_u32_e32 v31, 0x80, v31                               // 000000002B04: 683E3EFF 00000080
	v_add_u32_e32 v46, 0x80, v46                               // 000000002B0C: 685C5CFF 00000080
	s_waitcnt vmcnt(0) expcnt(0) lgkmcnt(0)                    // 000000002B14: BF8C0000
	s_barrier                                                  // 000000002B18: BF8A0000
	buffer_load_dwordx4 v[22:25], v46, s[20:23], 0 offen       // 000000002B1C: E05C1000 8005162E
	buffer_load_dwordx4 v[10:13], v31, s[12:15], 0 offen       // 000000002B24: E05C1000 80030A1F
	v_add_u32_e32 v31, 0x80, v31                               // 000000002B2C: 683E3EFF 00000080
	v_add_u32_e32 v46, 0x80, v46                               // 000000002B34: 685C5CFF 00000080
	v_mov_b32_e32 v40, 0                                       // 000000002B3C: 7E500280
	v_and_b32_e32 v36, 0xffff, v6                              // 000000002B40: 26480CFF 0000FFFF
	v_lshrrev_b32_e32 v37, 16, v6                              // 000000002B48: 204A0C90
	v_and_b32_e32 v38, 0xffff, v18                             // 000000002B4C: 264C24FF 0000FFFF
	v_lshrrev_b32_e32 v39, 16, v18                             // 000000002B54: 204E2490
	v_cvt_f32_bf16_e32 v36, v36                                // 000000002B58: 7E48B724
	v_cvt_f32_bf16_e32 v38, v38                                // 000000002B5C: 7E4CB726
	v_cvt_f32_bf16_e32 v37, v37                                // 000000002B60: 7E4AB725
	v_cvt_f32_bf16_e32 v39, v39                                // 000000002B64: 7E4EB727
	v_fma_f32 v40, v36, v38, v40                               // 000000002B68: D1CB0028 04A24D24
	v_fma_f32 v40, v37, v39, v40                               // 000000002B70: D1CB0028 04A24F25
	v_and_b32_e32 v36, 0xffff, v7                              // 000000002B78: 26480EFF 0000FFFF
	v_lshrrev_b32_e32 v37, 16, v7                              // 000000002B80: 204A0E90
	v_and_b32_e32 v38, 0xffff, v19                             // 000000002B84: 264C26FF 0000FFFF
	v_lshrrev_b32_e32 v39, 16, v19                             // 000000002B8C: 204E2690
	v_cvt_f32_bf16_e32 v36, v36                                // 000000002B90: 7E48B724
	v_cvt_f32_bf16_e32 v38, v38                                // 000000002B94: 7E4CB726
	v_cvt_f32_bf16_e32 v37, v37                                // 000000002B98: 7E4AB725
	v_cvt_f32_bf16_e32 v39, v39                                // 000000002B9C: 7E4EB727
	v_fma_f32 v40, v36, v38, v40                               // 000000002BA0: D1CB0028 04A24D24
	v_fma_f32 v40, v37, v39, v40                               // 000000002BA8: D1CB0028 04A24F25
	v_and_b32_e32 v36, 0xffff, v8                              // 000000002BB0: 264810FF 0000FFFF
	v_lshrrev_b32_e32 v37, 16, v8                              // 000000002BB8: 204A1090
	v_and_b32_e32 v38, 0xffff, v20                             // 000000002BBC: 264C28FF 0000FFFF
	v_lshrrev_b32_e32 v39, 16, v20                             // 000000002BC4: 204E2890
	v_cvt_f32_bf16_e32 v36, v36                                // 000000002BC8: 7E48B724
	v_cvt_f32_bf16_e32 v38, v38                                // 000000002BCC: 7E4CB726
	v_cvt_f32_bf16_e32 v37, v37                                // 000000002BD0: 7E4AB725
	v_cvt_f32_bf16_e32 v39, v39                                // 000000002BD4: 7E4EB727
	v_fma_f32 v40, v36, v38, v40                               // 000000002BD8: D1CB0028 04A24D24
	v_fma_f32 v40, v37, v39, v40                               // 000000002BE0: D1CB0028 04A24F25
	v_and_b32_e32 v36, 0xffff, v9                              // 000000002BE8: 264812FF 0000FFFF
	v_lshrrev_b32_e32 v37, 16, v9                              // 000000002BF0: 204A1290
	v_and_b32_e32 v38, 0xffff, v21                             // 000000002BF4: 264C2AFF 0000FFFF
	v_lshrrev_b32_e32 v39, 16, v21                             // 000000002BFC: 204E2A90
	v_cvt_f32_bf16_e32 v36, v36                                // 000000002C00: 7E48B724
	v_cvt_f32_bf16_e32 v38, v38                                // 000000002C04: 7E4CB726
	v_cvt_f32_bf16_e32 v37, v37                                // 000000002C08: 7E4AB725
	v_cvt_f32_bf16_e32 v39, v39                                // 000000002C0C: 7E4EB727
	v_fma_f32 v40, v36, v38, v40                               // 000000002C10: D1CB0028 04A24D24
	v_fma_f32 v40, v37, v39, v40                               // 000000002C18: D1CB0028 04A24F25
	ds_write_b32 v32, v40                                      // 000000002C20: D81A0000 00002820
	s_waitcnt lgkmcnt(0)                                       // 000000002C28: BF8CC07F
	s_mov_b64 exec, s[48:49]                                   // 000000002C2C: BEFE0130
	ds_read_b128 v[36:39], v34                                 // 000000002C30: D9FE0000 24000022
	s_waitcnt lgkmcnt(0)                                       // 000000002C38: BF8CC07F
	ds_read_b128 v[40:43], v35                                 // 000000002C3C: D9FE0000 28000023
	s_waitcnt lgkmcnt(0)                                       // 000000002C44: BF8CC07F
	v_add_f32_e32 v30, v36, v30                                // 000000002C48: 023C3D24
	v_add_f32_e32 v30, v37, v30                                // 000000002C4C: 023C3D25
	v_add_f32_e32 v30, v38, v30                                // 000000002C50: 023C3D26
	v_add_f32_e32 v30, v39, v30                                // 000000002C54: 023C3D27
	v_add_f32_e32 v30, v40, v30                                // 000000002C58: 023C3D28
	v_add_f32_e32 v30, v41, v30                                // 000000002C5C: 023C3D29
	v_add_f32_e32 v30, v42, v30                                // 000000002C60: 023C3D2A
	v_add_f32_e32 v30, v43, v30                                // 000000002C64: 023C3D2B
	s_mov_b64 exec, -1                                         // 000000002C68: BEFE01C1
	s_waitcnt vmcnt(0) expcnt(0) lgkmcnt(0)                    // 000000002C6C: BF8C0000
	s_barrier                                                  // 000000002C70: BF8A0000
	v_mov_b32_e32 v26, 0                                       // 000000002C74: 7E340280
	v_mov_b32_e32 v14, 0                                       // 000000002C78: 7E1C0280
	v_mov_b32_e32 v27, 0                                       // 000000002C7C: 7E360280
	v_mov_b32_e32 v15, 0                                       // 000000002C80: 7E1E0280
	v_mov_b32_e32 v28, 0                                       // 000000002C84: 7E380280
	v_mov_b32_e32 v16, 0                                       // 000000002C88: 7E200280
	v_mov_b32_e32 v29, 0                                       // 000000002C8C: 7E3A0280
	v_mov_b32_e32 v17, 0                                       // 000000002C90: 7E220280
	s_mov_b64 exec, s[36:37]                                   // 000000002C94: BEFE0124
	buffer_load_dwordx4 v[26:29], v46, s[20:23], 0 offen       // 000000002C98: E05C1000 80051A2E
	buffer_load_dwordx4 v[14:17], v31, s[12:15], 0 offen       // 000000002CA0: E05C1000 80030E1F
	s_mov_b64 exec, -1                                         // 000000002CA8: BEFE01C1
	v_add_u32_e32 v31, 0x80, v31                               // 000000002CAC: 683E3EFF 00000080
	v_add_u32_e32 v46, 0x80, v46                               // 000000002CB4: 685C5CFF 00000080
	v_mov_b32_e32 v40, 0                                       // 000000002CBC: 7E500280
	v_and_b32_e32 v36, 0xffff, v10                             // 000000002CC0: 264814FF 0000FFFF
	v_lshrrev_b32_e32 v37, 16, v10                             // 000000002CC8: 204A1490
	v_and_b32_e32 v38, 0xffff, v22                             // 000000002CCC: 264C2CFF 0000FFFF
	v_lshrrev_b32_e32 v39, 16, v22                             // 000000002CD4: 204E2C90
	v_cvt_f32_bf16_e32 v36, v36                                // 000000002CD8: 7E48B724
	v_cvt_f32_bf16_e32 v38, v38                                // 000000002CDC: 7E4CB726
	v_cvt_f32_bf16_e32 v37, v37                                // 000000002CE0: 7E4AB725
	v_cvt_f32_bf16_e32 v39, v39                                // 000000002CE4: 7E4EB727
	v_fma_f32 v40, v36, v38, v40                               // 000000002CE8: D1CB0028 04A24D24
	v_fma_f32 v40, v37, v39, v40                               // 000000002CF0: D1CB0028 04A24F25
	v_and_b32_e32 v36, 0xffff, v11                             // 000000002CF8: 264816FF 0000FFFF
	v_lshrrev_b32_e32 v37, 16, v11                             // 000000002D00: 204A1690
	v_and_b32_e32 v38, 0xffff, v23                             // 000000002D04: 264C2EFF 0000FFFF
	v_lshrrev_b32_e32 v39, 16, v23                             // 000000002D0C: 204E2E90
	v_cvt_f32_bf16_e32 v36, v36                                // 000000002D10: 7E48B724
	v_cvt_f32_bf16_e32 v38, v38                                // 000000002D14: 7E4CB726
	v_cvt_f32_bf16_e32 v37, v37                                // 000000002D18: 7E4AB725
	v_cvt_f32_bf16_e32 v39, v39                                // 000000002D1C: 7E4EB727
	v_fma_f32 v40, v36, v38, v40                               // 000000002D20: D1CB0028 04A24D24
	v_fma_f32 v40, v37, v39, v40                               // 000000002D28: D1CB0028 04A24F25
	v_and_b32_e32 v36, 0xffff, v12                             // 000000002D30: 264818FF 0000FFFF
	v_lshrrev_b32_e32 v37, 16, v12                             // 000000002D38: 204A1890
	v_and_b32_e32 v38, 0xffff, v24                             // 000000002D3C: 264C30FF 0000FFFF
	v_lshrrev_b32_e32 v39, 16, v24                             // 000000002D44: 204E3090
	v_cvt_f32_bf16_e32 v36, v36                                // 000000002D48: 7E48B724
	v_cvt_f32_bf16_e32 v38, v38                                // 000000002D4C: 7E4CB726
	v_cvt_f32_bf16_e32 v37, v37                                // 000000002D50: 7E4AB725
	v_cvt_f32_bf16_e32 v39, v39                                // 000000002D54: 7E4EB727
	v_fma_f32 v40, v36, v38, v40                               // 000000002D58: D1CB0028 04A24D24
	v_fma_f32 v40, v37, v39, v40                               // 000000002D60: D1CB0028 04A24F25
	v_and_b32_e32 v36, 0xffff, v13                             // 000000002D68: 26481AFF 0000FFFF
	v_lshrrev_b32_e32 v37, 16, v13                             // 000000002D70: 204A1A90
	v_and_b32_e32 v38, 0xffff, v25                             // 000000002D74: 264C32FF 0000FFFF
	v_lshrrev_b32_e32 v39, 16, v25                             // 000000002D7C: 204E3290
	v_cvt_f32_bf16_e32 v36, v36                                // 000000002D80: 7E48B724
	v_cvt_f32_bf16_e32 v38, v38                                // 000000002D84: 7E4CB726
	v_cvt_f32_bf16_e32 v37, v37                                // 000000002D88: 7E4AB725
	v_cvt_f32_bf16_e32 v39, v39                                // 000000002D8C: 7E4EB727
	v_fma_f32 v40, v36, v38, v40                               // 000000002D90: D1CB0028 04A24D24
	v_fma_f32 v40, v37, v39, v40                               // 000000002D98: D1CB0028 04A24F25
	ds_write_b32 v32, v40                                      // 000000002DA0: D81A0000 00002820
	s_waitcnt lgkmcnt(0)                                       // 000000002DA8: BF8CC07F
	s_mov_b64 exec, s[48:49]                                   // 000000002DAC: BEFE0130
	ds_read_b128 v[36:39], v34                                 // 000000002DB0: D9FE0000 24000022
	s_waitcnt lgkmcnt(0)                                       // 000000002DB8: BF8CC07F
	ds_read_b128 v[40:43], v35                                 // 000000002DBC: D9FE0000 28000023
	s_waitcnt lgkmcnt(0)                                       // 000000002DC4: BF8CC07F
	v_add_f32_e32 v30, v36, v30                                // 000000002DC8: 023C3D24
	v_add_f32_e32 v30, v37, v30                                // 000000002DCC: 023C3D25
	v_add_f32_e32 v30, v38, v30                                // 000000002DD0: 023C3D26
	v_add_f32_e32 v30, v39, v30                                // 000000002DD4: 023C3D27
	v_add_f32_e32 v30, v40, v30                                // 000000002DD8: 023C3D28
	v_add_f32_e32 v30, v41, v30                                // 000000002DDC: 023C3D29
	v_add_f32_e32 v30, v42, v30                                // 000000002DE0: 023C3D2A
	v_add_f32_e32 v30, v43, v30                                // 000000002DE4: 023C3D2B
	s_mov_b64 exec, -1                                         // 000000002DE8: BEFE01C1
	s_waitcnt vmcnt(0) expcnt(0) lgkmcnt(0)                    // 000000002DEC: BF8C0000
	s_barrier                                                  // 000000002DF0: BF8A0000
	v_mov_b32_e32 v40, 0                                       // 000000002DF4: 7E500280
	v_and_b32_e32 v36, 0xffff, v14                             // 000000002DF8: 26481CFF 0000FFFF
	v_lshrrev_b32_e32 v37, 16, v14                             // 000000002E00: 204A1C90
	v_and_b32_e32 v38, 0xffff, v26                             // 000000002E04: 264C34FF 0000FFFF
	v_lshrrev_b32_e32 v39, 16, v26                             // 000000002E0C: 204E3490
	v_cvt_f32_bf16_e32 v36, v36                                // 000000002E10: 7E48B724
	v_cvt_f32_bf16_e32 v38, v38                                // 000000002E14: 7E4CB726
	v_cvt_f32_bf16_e32 v37, v37                                // 000000002E18: 7E4AB725
	v_cvt_f32_bf16_e32 v39, v39                                // 000000002E1C: 7E4EB727
	v_fma_f32 v40, v36, v38, v40                               // 000000002E20: D1CB0028 04A24D24
	v_fma_f32 v40, v37, v39, v40                               // 000000002E28: D1CB0028 04A24F25
	v_and_b32_e32 v36, 0xffff, v15                             // 000000002E30: 26481EFF 0000FFFF
	v_lshrrev_b32_e32 v37, 16, v15                             // 000000002E38: 204A1E90
	v_and_b32_e32 v38, 0xffff, v27                             // 000000002E3C: 264C36FF 0000FFFF
	v_lshrrev_b32_e32 v39, 16, v27                             // 000000002E44: 204E3690
	v_cvt_f32_bf16_e32 v36, v36                                // 000000002E48: 7E48B724
	v_cvt_f32_bf16_e32 v38, v38                                // 000000002E4C: 7E4CB726
	v_cvt_f32_bf16_e32 v37, v37                                // 000000002E50: 7E4AB725
	v_cvt_f32_bf16_e32 v39, v39                                // 000000002E54: 7E4EB727
	v_fma_f32 v40, v36, v38, v40                               // 000000002E58: D1CB0028 04A24D24
	v_fma_f32 v40, v37, v39, v40                               // 000000002E60: D1CB0028 04A24F25
	v_and_b32_e32 v36, 0xffff, v16                             // 000000002E68: 264820FF 0000FFFF
	v_lshrrev_b32_e32 v37, 16, v16                             // 000000002E70: 204A2090
	v_and_b32_e32 v38, 0xffff, v28                             // 000000002E74: 264C38FF 0000FFFF
	v_lshrrev_b32_e32 v39, 16, v28                             // 000000002E7C: 204E3890
	v_cvt_f32_bf16_e32 v36, v36                                // 000000002E80: 7E48B724
	v_cvt_f32_bf16_e32 v38, v38                                // 000000002E84: 7E4CB726
	v_cvt_f32_bf16_e32 v37, v37                                // 000000002E88: 7E4AB725
	v_cvt_f32_bf16_e32 v39, v39                                // 000000002E8C: 7E4EB727
	v_fma_f32 v40, v36, v38, v40                               // 000000002E90: D1CB0028 04A24D24
	v_fma_f32 v40, v37, v39, v40                               // 000000002E98: D1CB0028 04A24F25
	v_and_b32_e32 v36, 0xffff, v17                             // 000000002EA0: 264822FF 0000FFFF
	v_lshrrev_b32_e32 v37, 16, v17                             // 000000002EA8: 204A2290
	v_and_b32_e32 v38, 0xffff, v29                             // 000000002EAC: 264C3AFF 0000FFFF
	v_lshrrev_b32_e32 v39, 16, v29                             // 000000002EB4: 204E3A90
	v_cvt_f32_bf16_e32 v36, v36                                // 000000002EB8: 7E48B724
	v_cvt_f32_bf16_e32 v38, v38                                // 000000002EBC: 7E4CB726
	v_cvt_f32_bf16_e32 v37, v37                                // 000000002EC0: 7E4AB725
	v_cvt_f32_bf16_e32 v39, v39                                // 000000002EC4: 7E4EB727
	v_fma_f32 v40, v36, v38, v40                               // 000000002EC8: D1CB0028 04A24D24
	v_fma_f32 v40, v37, v39, v40                               // 000000002ED0: D1CB0028 04A24F25
	ds_write_b32 v32, v40                                      // 000000002ED8: D81A0000 00002820
	s_waitcnt lgkmcnt(0)                                       // 000000002EE0: BF8CC07F
	s_mov_b64 exec, s[48:49]                                   // 000000002EE4: BEFE0130
	ds_read_b128 v[36:39], v34                                 // 000000002EE8: D9FE0000 24000022
	s_waitcnt lgkmcnt(0)                                       // 000000002EF0: BF8CC07F
	ds_read_b128 v[40:43], v35                                 // 000000002EF4: D9FE0000 28000023
	s_waitcnt lgkmcnt(0)                                       // 000000002EFC: BF8CC07F
	v_add_f32_e32 v30, v36, v30                                // 000000002F00: 023C3D24
	v_add_f32_e32 v30, v37, v30                                // 000000002F04: 023C3D25
	v_add_f32_e32 v30, v38, v30                                // 000000002F08: 023C3D26
	v_add_f32_e32 v30, v39, v30                                // 000000002F0C: 023C3D27
	v_add_f32_e32 v30, v40, v30                                // 000000002F10: 023C3D28
	v_add_f32_e32 v30, v41, v30                                // 000000002F14: 023C3D29
	v_add_f32_e32 v30, v42, v30                                // 000000002F18: 023C3D2A
	v_add_f32_e32 v30, v43, v30                                // 000000002F1C: 023C3D2B
	s_mov_b64 exec, -1                                         // 000000002F20: BEFE01C1
	s_mul_i32 s31, s8, 2                                       // 000000002F24: 921F8208
	s_lshl_b32 s31, s31, 3                                     // 000000002F28: 8E1F831F
	v_add_u32_e32 v31, s31, v4                                 // 000000002F2C: 683E081F
	s_mul_i32 s31, s52, 2                                      // 000000002F30: 921F8234
	s_lshl_b32 s31, s31, 3                                     // 000000002F34: 8E1F831F
	v_add_u32_e32 v46, s31, v45                                // 000000002F38: 685C5A1F
	v_and_b32_e32 v44, 7, v0                                   // 000000002F3C: 26580087
	v_cmp_eq_u32_e64 s[48:49], v44, 4                          // 000000002F40: D0CA0030 0001092C
	buffer_load_dwordx4 v[18:21], v46, s[20:23], 0 offen       // 000000002F48: E05C1000 8005122E
	buffer_load_dwordx4 v[6:9], v31, s[12:15], 0 offen         // 000000002F50: E05C1000 8003061F
	v_add_u32_e32 v31, 0x80, v31                               // 000000002F58: 683E3EFF 00000080
	v_add_u32_e32 v46, 0x80, v46                               // 000000002F60: 685C5CFF 00000080
	s_waitcnt vmcnt(0) expcnt(0) lgkmcnt(0)                    // 000000002F68: BF8C0000
	s_barrier                                                  // 000000002F6C: BF8A0000
	buffer_load_dwordx4 v[22:25], v46, s[20:23], 0 offen       // 000000002F70: E05C1000 8005162E
	buffer_load_dwordx4 v[10:13], v31, s[12:15], 0 offen       // 000000002F78: E05C1000 80030A1F
	v_add_u32_e32 v31, 0x80, v31                               // 000000002F80: 683E3EFF 00000080
	v_add_u32_e32 v46, 0x80, v46                               // 000000002F88: 685C5CFF 00000080
	v_mov_b32_e32 v40, 0                                       // 000000002F90: 7E500280
	v_and_b32_e32 v36, 0xffff, v6                              // 000000002F94: 26480CFF 0000FFFF
	v_lshrrev_b32_e32 v37, 16, v6                              // 000000002F9C: 204A0C90
	v_and_b32_e32 v38, 0xffff, v18                             // 000000002FA0: 264C24FF 0000FFFF
	v_lshrrev_b32_e32 v39, 16, v18                             // 000000002FA8: 204E2490
	v_cvt_f32_bf16_e32 v36, v36                                // 000000002FAC: 7E48B724
	v_cvt_f32_bf16_e32 v38, v38                                // 000000002FB0: 7E4CB726
	v_cvt_f32_bf16_e32 v37, v37                                // 000000002FB4: 7E4AB725
	v_cvt_f32_bf16_e32 v39, v39                                // 000000002FB8: 7E4EB727
	v_fma_f32 v40, v36, v38, v40                               // 000000002FBC: D1CB0028 04A24D24
	v_fma_f32 v40, v37, v39, v40                               // 000000002FC4: D1CB0028 04A24F25
	v_and_b32_e32 v36, 0xffff, v7                              // 000000002FCC: 26480EFF 0000FFFF
	v_lshrrev_b32_e32 v37, 16, v7                              // 000000002FD4: 204A0E90
	v_and_b32_e32 v38, 0xffff, v19                             // 000000002FD8: 264C26FF 0000FFFF
	v_lshrrev_b32_e32 v39, 16, v19                             // 000000002FE0: 204E2690
	v_cvt_f32_bf16_e32 v36, v36                                // 000000002FE4: 7E48B724
	v_cvt_f32_bf16_e32 v38, v38                                // 000000002FE8: 7E4CB726
	v_cvt_f32_bf16_e32 v37, v37                                // 000000002FEC: 7E4AB725
	v_cvt_f32_bf16_e32 v39, v39                                // 000000002FF0: 7E4EB727
	v_fma_f32 v40, v36, v38, v40                               // 000000002FF4: D1CB0028 04A24D24
	v_fma_f32 v40, v37, v39, v40                               // 000000002FFC: D1CB0028 04A24F25
	v_and_b32_e32 v36, 0xffff, v8                              // 000000003004: 264810FF 0000FFFF
	v_lshrrev_b32_e32 v37, 16, v8                              // 00000000300C: 204A1090
	v_and_b32_e32 v38, 0xffff, v20                             // 000000003010: 264C28FF 0000FFFF
	v_lshrrev_b32_e32 v39, 16, v20                             // 000000003018: 204E2890
	v_cvt_f32_bf16_e32 v36, v36                                // 00000000301C: 7E48B724
	v_cvt_f32_bf16_e32 v38, v38                                // 000000003020: 7E4CB726
	v_cvt_f32_bf16_e32 v37, v37                                // 000000003024: 7E4AB725
	v_cvt_f32_bf16_e32 v39, v39                                // 000000003028: 7E4EB727
	v_fma_f32 v40, v36, v38, v40                               // 00000000302C: D1CB0028 04A24D24
	v_fma_f32 v40, v37, v39, v40                               // 000000003034: D1CB0028 04A24F25
	v_and_b32_e32 v36, 0xffff, v9                              // 00000000303C: 264812FF 0000FFFF
	v_lshrrev_b32_e32 v37, 16, v9                              // 000000003044: 204A1290
	v_and_b32_e32 v38, 0xffff, v21                             // 000000003048: 264C2AFF 0000FFFF
	v_lshrrev_b32_e32 v39, 16, v21                             // 000000003050: 204E2A90
	v_cvt_f32_bf16_e32 v36, v36                                // 000000003054: 7E48B724
	v_cvt_f32_bf16_e32 v38, v38                                // 000000003058: 7E4CB726
	v_cvt_f32_bf16_e32 v37, v37                                // 00000000305C: 7E4AB725
	v_cvt_f32_bf16_e32 v39, v39                                // 000000003060: 7E4EB727
	v_fma_f32 v40, v36, v38, v40                               // 000000003064: D1CB0028 04A24D24
	v_fma_f32 v40, v37, v39, v40                               // 00000000306C: D1CB0028 04A24F25
	ds_write_b32 v32, v40                                      // 000000003074: D81A0000 00002820
	s_waitcnt lgkmcnt(0)                                       // 00000000307C: BF8CC07F
	s_mov_b64 exec, s[48:49]                                   // 000000003080: BEFE0130
	ds_read_b128 v[36:39], v34                                 // 000000003084: D9FE0000 24000022
	s_waitcnt lgkmcnt(0)                                       // 00000000308C: BF8CC07F
	ds_read_b128 v[40:43], v35                                 // 000000003090: D9FE0000 28000023
	s_waitcnt lgkmcnt(0)                                       // 000000003098: BF8CC07F
	v_add_f32_e32 v30, v36, v30                                // 00000000309C: 023C3D24
	v_add_f32_e32 v30, v37, v30                                // 0000000030A0: 023C3D25
	v_add_f32_e32 v30, v38, v30                                // 0000000030A4: 023C3D26
	v_add_f32_e32 v30, v39, v30                                // 0000000030A8: 023C3D27
	v_add_f32_e32 v30, v40, v30                                // 0000000030AC: 023C3D28
	v_add_f32_e32 v30, v41, v30                                // 0000000030B0: 023C3D29
	v_add_f32_e32 v30, v42, v30                                // 0000000030B4: 023C3D2A
	v_add_f32_e32 v30, v43, v30                                // 0000000030B8: 023C3D2B
	s_mov_b64 exec, -1                                         // 0000000030BC: BEFE01C1
	s_waitcnt vmcnt(0) expcnt(0) lgkmcnt(0)                    // 0000000030C0: BF8C0000
	s_barrier                                                  // 0000000030C4: BF8A0000
	v_mov_b32_e32 v26, 0                                       // 0000000030C8: 7E340280
	v_mov_b32_e32 v14, 0                                       // 0000000030CC: 7E1C0280
	v_mov_b32_e32 v27, 0                                       // 0000000030D0: 7E360280
	v_mov_b32_e32 v15, 0                                       // 0000000030D4: 7E1E0280
	v_mov_b32_e32 v28, 0                                       // 0000000030D8: 7E380280
	v_mov_b32_e32 v16, 0                                       // 0000000030DC: 7E200280
	v_mov_b32_e32 v29, 0                                       // 0000000030E0: 7E3A0280
	v_mov_b32_e32 v17, 0                                       // 0000000030E4: 7E220280
	s_mov_b64 exec, s[36:37]                                   // 0000000030E8: BEFE0124
	buffer_load_dwordx4 v[26:29], v46, s[20:23], 0 offen       // 0000000030EC: E05C1000 80051A2E
	buffer_load_dwordx4 v[14:17], v31, s[12:15], 0 offen       // 0000000030F4: E05C1000 80030E1F
	s_mov_b64 exec, -1                                         // 0000000030FC: BEFE01C1
	v_add_u32_e32 v31, 0x80, v31                               // 000000003100: 683E3EFF 00000080
	v_add_u32_e32 v46, 0x80, v46                               // 000000003108: 685C5CFF 00000080
	v_mov_b32_e32 v40, 0                                       // 000000003110: 7E500280
	v_and_b32_e32 v36, 0xffff, v10                             // 000000003114: 264814FF 0000FFFF
	v_lshrrev_b32_e32 v37, 16, v10                             // 00000000311C: 204A1490
	v_and_b32_e32 v38, 0xffff, v22                             // 000000003120: 264C2CFF 0000FFFF
	v_lshrrev_b32_e32 v39, 16, v22                             // 000000003128: 204E2C90
	v_cvt_f32_bf16_e32 v36, v36                                // 00000000312C: 7E48B724
	v_cvt_f32_bf16_e32 v38, v38                                // 000000003130: 7E4CB726
	v_cvt_f32_bf16_e32 v37, v37                                // 000000003134: 7E4AB725
	v_cvt_f32_bf16_e32 v39, v39                                // 000000003138: 7E4EB727
	v_fma_f32 v40, v36, v38, v40                               // 00000000313C: D1CB0028 04A24D24
	v_fma_f32 v40, v37, v39, v40                               // 000000003144: D1CB0028 04A24F25
	v_and_b32_e32 v36, 0xffff, v11                             // 00000000314C: 264816FF 0000FFFF
	v_lshrrev_b32_e32 v37, 16, v11                             // 000000003154: 204A1690
	v_and_b32_e32 v38, 0xffff, v23                             // 000000003158: 264C2EFF 0000FFFF
	v_lshrrev_b32_e32 v39, 16, v23                             // 000000003160: 204E2E90
	v_cvt_f32_bf16_e32 v36, v36                                // 000000003164: 7E48B724
	v_cvt_f32_bf16_e32 v38, v38                                // 000000003168: 7E4CB726
	v_cvt_f32_bf16_e32 v37, v37                                // 00000000316C: 7E4AB725
	v_cvt_f32_bf16_e32 v39, v39                                // 000000003170: 7E4EB727
	v_fma_f32 v40, v36, v38, v40                               // 000000003174: D1CB0028 04A24D24
	v_fma_f32 v40, v37, v39, v40                               // 00000000317C: D1CB0028 04A24F25
	v_and_b32_e32 v36, 0xffff, v12                             // 000000003184: 264818FF 0000FFFF
	v_lshrrev_b32_e32 v37, 16, v12                             // 00000000318C: 204A1890
	v_and_b32_e32 v38, 0xffff, v24                             // 000000003190: 264C30FF 0000FFFF
	v_lshrrev_b32_e32 v39, 16, v24                             // 000000003198: 204E3090
	v_cvt_f32_bf16_e32 v36, v36                                // 00000000319C: 7E48B724
	v_cvt_f32_bf16_e32 v38, v38                                // 0000000031A0: 7E4CB726
	v_cvt_f32_bf16_e32 v37, v37                                // 0000000031A4: 7E4AB725
	v_cvt_f32_bf16_e32 v39, v39                                // 0000000031A8: 7E4EB727
	v_fma_f32 v40, v36, v38, v40                               // 0000000031AC: D1CB0028 04A24D24
	v_fma_f32 v40, v37, v39, v40                               // 0000000031B4: D1CB0028 04A24F25
	v_and_b32_e32 v36, 0xffff, v13                             // 0000000031BC: 26481AFF 0000FFFF
	v_lshrrev_b32_e32 v37, 16, v13                             // 0000000031C4: 204A1A90
	v_and_b32_e32 v38, 0xffff, v25                             // 0000000031C8: 264C32FF 0000FFFF
	v_lshrrev_b32_e32 v39, 16, v25                             // 0000000031D0: 204E3290
	v_cvt_f32_bf16_e32 v36, v36                                // 0000000031D4: 7E48B724
	v_cvt_f32_bf16_e32 v38, v38                                // 0000000031D8: 7E4CB726
	v_cvt_f32_bf16_e32 v37, v37                                // 0000000031DC: 7E4AB725
	v_cvt_f32_bf16_e32 v39, v39                                // 0000000031E0: 7E4EB727
	v_fma_f32 v40, v36, v38, v40                               // 0000000031E4: D1CB0028 04A24D24
	v_fma_f32 v40, v37, v39, v40                               // 0000000031EC: D1CB0028 04A24F25
	ds_write_b32 v32, v40                                      // 0000000031F4: D81A0000 00002820
	s_waitcnt lgkmcnt(0)                                       // 0000000031FC: BF8CC07F
	s_mov_b64 exec, s[48:49]                                   // 000000003200: BEFE0130
	ds_read_b128 v[36:39], v34                                 // 000000003204: D9FE0000 24000022
	s_waitcnt lgkmcnt(0)                                       // 00000000320C: BF8CC07F
	ds_read_b128 v[40:43], v35                                 // 000000003210: D9FE0000 28000023
	s_waitcnt lgkmcnt(0)                                       // 000000003218: BF8CC07F
	v_add_f32_e32 v30, v36, v30                                // 00000000321C: 023C3D24
	v_add_f32_e32 v30, v37, v30                                // 000000003220: 023C3D25
	v_add_f32_e32 v30, v38, v30                                // 000000003224: 023C3D26
	v_add_f32_e32 v30, v39, v30                                // 000000003228: 023C3D27
	v_add_f32_e32 v30, v40, v30                                // 00000000322C: 023C3D28
	v_add_f32_e32 v30, v41, v30                                // 000000003230: 023C3D29
	v_add_f32_e32 v30, v42, v30                                // 000000003234: 023C3D2A
	v_add_f32_e32 v30, v43, v30                                // 000000003238: 023C3D2B
	s_mov_b64 exec, -1                                         // 00000000323C: BEFE01C1
	s_waitcnt vmcnt(0) expcnt(0) lgkmcnt(0)                    // 000000003240: BF8C0000
	s_barrier                                                  // 000000003244: BF8A0000
	v_mov_b32_e32 v40, 0                                       // 000000003248: 7E500280
	v_and_b32_e32 v36, 0xffff, v14                             // 00000000324C: 26481CFF 0000FFFF
	v_lshrrev_b32_e32 v37, 16, v14                             // 000000003254: 204A1C90
	v_and_b32_e32 v38, 0xffff, v26                             // 000000003258: 264C34FF 0000FFFF
	v_lshrrev_b32_e32 v39, 16, v26                             // 000000003260: 204E3490
	v_cvt_f32_bf16_e32 v36, v36                                // 000000003264: 7E48B724
	v_cvt_f32_bf16_e32 v38, v38                                // 000000003268: 7E4CB726
	v_cvt_f32_bf16_e32 v37, v37                                // 00000000326C: 7E4AB725
	v_cvt_f32_bf16_e32 v39, v39                                // 000000003270: 7E4EB727
	v_fma_f32 v40, v36, v38, v40                               // 000000003274: D1CB0028 04A24D24
	v_fma_f32 v40, v37, v39, v40                               // 00000000327C: D1CB0028 04A24F25
	v_and_b32_e32 v36, 0xffff, v15                             // 000000003284: 26481EFF 0000FFFF
	v_lshrrev_b32_e32 v37, 16, v15                             // 00000000328C: 204A1E90
	v_and_b32_e32 v38, 0xffff, v27                             // 000000003290: 264C36FF 0000FFFF
	v_lshrrev_b32_e32 v39, 16, v27                             // 000000003298: 204E3690
	v_cvt_f32_bf16_e32 v36, v36                                // 00000000329C: 7E48B724
	v_cvt_f32_bf16_e32 v38, v38                                // 0000000032A0: 7E4CB726
	v_cvt_f32_bf16_e32 v37, v37                                // 0000000032A4: 7E4AB725
	v_cvt_f32_bf16_e32 v39, v39                                // 0000000032A8: 7E4EB727
	v_fma_f32 v40, v36, v38, v40                               // 0000000032AC: D1CB0028 04A24D24
	v_fma_f32 v40, v37, v39, v40                               // 0000000032B4: D1CB0028 04A24F25
	v_and_b32_e32 v36, 0xffff, v16                             // 0000000032BC: 264820FF 0000FFFF
	v_lshrrev_b32_e32 v37, 16, v16                             // 0000000032C4: 204A2090
	v_and_b32_e32 v38, 0xffff, v28                             // 0000000032C8: 264C38FF 0000FFFF
	v_lshrrev_b32_e32 v39, 16, v28                             // 0000000032D0: 204E3890
	v_cvt_f32_bf16_e32 v36, v36                                // 0000000032D4: 7E48B724
	v_cvt_f32_bf16_e32 v38, v38                                // 0000000032D8: 7E4CB726
	v_cvt_f32_bf16_e32 v37, v37                                // 0000000032DC: 7E4AB725
	v_cvt_f32_bf16_e32 v39, v39                                // 0000000032E0: 7E4EB727
	v_fma_f32 v40, v36, v38, v40                               // 0000000032E4: D1CB0028 04A24D24
	v_fma_f32 v40, v37, v39, v40                               // 0000000032EC: D1CB0028 04A24F25
	v_and_b32_e32 v36, 0xffff, v17                             // 0000000032F4: 264822FF 0000FFFF
	v_lshrrev_b32_e32 v37, 16, v17                             // 0000000032FC: 204A2290
	v_and_b32_e32 v38, 0xffff, v29                             // 000000003300: 264C3AFF 0000FFFF
	v_lshrrev_b32_e32 v39, 16, v29                             // 000000003308: 204E3A90
	v_cvt_f32_bf16_e32 v36, v36                                // 00000000330C: 7E48B724
	v_cvt_f32_bf16_e32 v38, v38                                // 000000003310: 7E4CB726
	v_cvt_f32_bf16_e32 v37, v37                                // 000000003314: 7E4AB725
	v_cvt_f32_bf16_e32 v39, v39                                // 000000003318: 7E4EB727
	v_fma_f32 v40, v36, v38, v40                               // 00000000331C: D1CB0028 04A24D24
	v_fma_f32 v40, v37, v39, v40                               // 000000003324: D1CB0028 04A24F25
	ds_write_b32 v32, v40                                      // 00000000332C: D81A0000 00002820
	s_waitcnt lgkmcnt(0)                                       // 000000003334: BF8CC07F
	s_mov_b64 exec, s[48:49]                                   // 000000003338: BEFE0130
	ds_read_b128 v[36:39], v34                                 // 00000000333C: D9FE0000 24000022
	s_waitcnt lgkmcnt(0)                                       // 000000003344: BF8CC07F
	ds_read_b128 v[40:43], v35                                 // 000000003348: D9FE0000 28000023
	s_waitcnt lgkmcnt(0)                                       // 000000003350: BF8CC07F
	v_add_f32_e32 v30, v36, v30                                // 000000003354: 023C3D24
	v_add_f32_e32 v30, v37, v30                                // 000000003358: 023C3D25
	v_add_f32_e32 v30, v38, v30                                // 00000000335C: 023C3D26
	v_add_f32_e32 v30, v39, v30                                // 000000003360: 023C3D27
	v_add_f32_e32 v30, v40, v30                                // 000000003364: 023C3D28
	v_add_f32_e32 v30, v41, v30                                // 000000003368: 023C3D29
	v_add_f32_e32 v30, v42, v30                                // 00000000336C: 023C3D2A
	v_add_f32_e32 v30, v43, v30                                // 000000003370: 023C3D2B
	s_mov_b64 exec, -1                                         // 000000003374: BEFE01C1
	s_mul_i32 s31, s8, 3                                       // 000000003378: 921F8308
	s_lshl_b32 s31, s31, 3                                     // 00000000337C: 8E1F831F
	v_add_u32_e32 v31, s31, v4                                 // 000000003380: 683E081F
	s_mul_i32 s31, s52, 3                                      // 000000003384: 921F8334
	s_lshl_b32 s31, s31, 3                                     // 000000003388: 8E1F831F
	v_add_u32_e32 v46, s31, v45                                // 00000000338C: 685C5A1F
	v_and_b32_e32 v44, 7, v0                                   // 000000003390: 26580087
	v_cmp_eq_u32_e64 s[48:49], v44, 6                          // 000000003394: D0CA0030 00010D2C
	buffer_load_dwordx4 v[18:21], v46, s[20:23], 0 offen       // 00000000339C: E05C1000 8005122E
	buffer_load_dwordx4 v[6:9], v31, s[12:15], 0 offen         // 0000000033A4: E05C1000 8003061F
	v_add_u32_e32 v31, 0x80, v31                               // 0000000033AC: 683E3EFF 00000080
	v_add_u32_e32 v46, 0x80, v46                               // 0000000033B4: 685C5CFF 00000080
	s_waitcnt vmcnt(0) expcnt(0) lgkmcnt(0)                    // 0000000033BC: BF8C0000
	s_barrier                                                  // 0000000033C0: BF8A0000
	buffer_load_dwordx4 v[22:25], v46, s[20:23], 0 offen       // 0000000033C4: E05C1000 8005162E
	buffer_load_dwordx4 v[10:13], v31, s[12:15], 0 offen       // 0000000033CC: E05C1000 80030A1F
	v_add_u32_e32 v31, 0x80, v31                               // 0000000033D4: 683E3EFF 00000080
	v_add_u32_e32 v46, 0x80, v46                               // 0000000033DC: 685C5CFF 00000080
	v_mov_b32_e32 v40, 0                                       // 0000000033E4: 7E500280
	v_and_b32_e32 v36, 0xffff, v6                              // 0000000033E8: 26480CFF 0000FFFF
	v_lshrrev_b32_e32 v37, 16, v6                              // 0000000033F0: 204A0C90
	v_and_b32_e32 v38, 0xffff, v18                             // 0000000033F4: 264C24FF 0000FFFF
	v_lshrrev_b32_e32 v39, 16, v18                             // 0000000033FC: 204E2490
	v_cvt_f32_bf16_e32 v36, v36                                // 000000003400: 7E48B724
	v_cvt_f32_bf16_e32 v38, v38                                // 000000003404: 7E4CB726
	v_cvt_f32_bf16_e32 v37, v37                                // 000000003408: 7E4AB725
	v_cvt_f32_bf16_e32 v39, v39                                // 00000000340C: 7E4EB727
	v_fma_f32 v40, v36, v38, v40                               // 000000003410: D1CB0028 04A24D24
	v_fma_f32 v40, v37, v39, v40                               // 000000003418: D1CB0028 04A24F25
	v_and_b32_e32 v36, 0xffff, v7                              // 000000003420: 26480EFF 0000FFFF
	v_lshrrev_b32_e32 v37, 16, v7                              // 000000003428: 204A0E90
	v_and_b32_e32 v38, 0xffff, v19                             // 00000000342C: 264C26FF 0000FFFF
	v_lshrrev_b32_e32 v39, 16, v19                             // 000000003434: 204E2690
	v_cvt_f32_bf16_e32 v36, v36                                // 000000003438: 7E48B724
	v_cvt_f32_bf16_e32 v38, v38                                // 00000000343C: 7E4CB726
	v_cvt_f32_bf16_e32 v37, v37                                // 000000003440: 7E4AB725
	v_cvt_f32_bf16_e32 v39, v39                                // 000000003444: 7E4EB727
	v_fma_f32 v40, v36, v38, v40                               // 000000003448: D1CB0028 04A24D24
	v_fma_f32 v40, v37, v39, v40                               // 000000003450: D1CB0028 04A24F25
	v_and_b32_e32 v36, 0xffff, v8                              // 000000003458: 264810FF 0000FFFF
	v_lshrrev_b32_e32 v37, 16, v8                              // 000000003460: 204A1090
	v_and_b32_e32 v38, 0xffff, v20                             // 000000003464: 264C28FF 0000FFFF
	v_lshrrev_b32_e32 v39, 16, v20                             // 00000000346C: 204E2890
	v_cvt_f32_bf16_e32 v36, v36                                // 000000003470: 7E48B724
	v_cvt_f32_bf16_e32 v38, v38                                // 000000003474: 7E4CB726
	v_cvt_f32_bf16_e32 v37, v37                                // 000000003478: 7E4AB725
	v_cvt_f32_bf16_e32 v39, v39                                // 00000000347C: 7E4EB727
	v_fma_f32 v40, v36, v38, v40                               // 000000003480: D1CB0028 04A24D24
	v_fma_f32 v40, v37, v39, v40                               // 000000003488: D1CB0028 04A24F25
	v_and_b32_e32 v36, 0xffff, v9                              // 000000003490: 264812FF 0000FFFF
	v_lshrrev_b32_e32 v37, 16, v9                              // 000000003498: 204A1290
	v_and_b32_e32 v38, 0xffff, v21                             // 00000000349C: 264C2AFF 0000FFFF
	v_lshrrev_b32_e32 v39, 16, v21                             // 0000000034A4: 204E2A90
	v_cvt_f32_bf16_e32 v36, v36                                // 0000000034A8: 7E48B724
	v_cvt_f32_bf16_e32 v38, v38                                // 0000000034AC: 7E4CB726
	v_cvt_f32_bf16_e32 v37, v37                                // 0000000034B0: 7E4AB725
	v_cvt_f32_bf16_e32 v39, v39                                // 0000000034B4: 7E4EB727
	v_fma_f32 v40, v36, v38, v40                               // 0000000034B8: D1CB0028 04A24D24
	v_fma_f32 v40, v37, v39, v40                               // 0000000034C0: D1CB0028 04A24F25
	ds_write_b32 v32, v40                                      // 0000000034C8: D81A0000 00002820
	s_waitcnt lgkmcnt(0)                                       // 0000000034D0: BF8CC07F
	s_mov_b64 exec, s[48:49]                                   // 0000000034D4: BEFE0130
	ds_read_b128 v[36:39], v34                                 // 0000000034D8: D9FE0000 24000022
	s_waitcnt lgkmcnt(0)                                       // 0000000034E0: BF8CC07F
	ds_read_b128 v[40:43], v35                                 // 0000000034E4: D9FE0000 28000023
	s_waitcnt lgkmcnt(0)                                       // 0000000034EC: BF8CC07F
	v_add_f32_e32 v30, v36, v30                                // 0000000034F0: 023C3D24
	v_add_f32_e32 v30, v37, v30                                // 0000000034F4: 023C3D25
	v_add_f32_e32 v30, v38, v30                                // 0000000034F8: 023C3D26
	v_add_f32_e32 v30, v39, v30                                // 0000000034FC: 023C3D27
	v_add_f32_e32 v30, v40, v30                                // 000000003500: 023C3D28
	v_add_f32_e32 v30, v41, v30                                // 000000003504: 023C3D29
	v_add_f32_e32 v30, v42, v30                                // 000000003508: 023C3D2A
	v_add_f32_e32 v30, v43, v30                                // 00000000350C: 023C3D2B
	s_mov_b64 exec, -1                                         // 000000003510: BEFE01C1
	s_waitcnt vmcnt(0) expcnt(0) lgkmcnt(0)                    // 000000003514: BF8C0000
	s_barrier                                                  // 000000003518: BF8A0000
	v_mov_b32_e32 v26, 0                                       // 00000000351C: 7E340280
	v_mov_b32_e32 v14, 0                                       // 000000003520: 7E1C0280
	v_mov_b32_e32 v27, 0                                       // 000000003524: 7E360280
	v_mov_b32_e32 v15, 0                                       // 000000003528: 7E1E0280
	v_mov_b32_e32 v28, 0                                       // 00000000352C: 7E380280
	v_mov_b32_e32 v16, 0                                       // 000000003530: 7E200280
	v_mov_b32_e32 v29, 0                                       // 000000003534: 7E3A0280
	v_mov_b32_e32 v17, 0                                       // 000000003538: 7E220280
	s_mov_b64 exec, s[36:37]                                   // 00000000353C: BEFE0124
	buffer_load_dwordx4 v[26:29], v46, s[20:23], 0 offen       // 000000003540: E05C1000 80051A2E
	buffer_load_dwordx4 v[14:17], v31, s[12:15], 0 offen       // 000000003548: E05C1000 80030E1F
	s_mov_b64 exec, -1                                         // 000000003550: BEFE01C1
	v_add_u32_e32 v31, 0x80, v31                               // 000000003554: 683E3EFF 00000080
	v_add_u32_e32 v46, 0x80, v46                               // 00000000355C: 685C5CFF 00000080
	v_mov_b32_e32 v40, 0                                       // 000000003564: 7E500280
	v_and_b32_e32 v36, 0xffff, v10                             // 000000003568: 264814FF 0000FFFF
	v_lshrrev_b32_e32 v37, 16, v10                             // 000000003570: 204A1490
	v_and_b32_e32 v38, 0xffff, v22                             // 000000003574: 264C2CFF 0000FFFF
	v_lshrrev_b32_e32 v39, 16, v22                             // 00000000357C: 204E2C90
	v_cvt_f32_bf16_e32 v36, v36                                // 000000003580: 7E48B724
	v_cvt_f32_bf16_e32 v38, v38                                // 000000003584: 7E4CB726
	v_cvt_f32_bf16_e32 v37, v37                                // 000000003588: 7E4AB725
	v_cvt_f32_bf16_e32 v39, v39                                // 00000000358C: 7E4EB727
	v_fma_f32 v40, v36, v38, v40                               // 000000003590: D1CB0028 04A24D24
	v_fma_f32 v40, v37, v39, v40                               // 000000003598: D1CB0028 04A24F25
	v_and_b32_e32 v36, 0xffff, v11                             // 0000000035A0: 264816FF 0000FFFF
	v_lshrrev_b32_e32 v37, 16, v11                             // 0000000035A8: 204A1690
	v_and_b32_e32 v38, 0xffff, v23                             // 0000000035AC: 264C2EFF 0000FFFF
	v_lshrrev_b32_e32 v39, 16, v23                             // 0000000035B4: 204E2E90
	v_cvt_f32_bf16_e32 v36, v36                                // 0000000035B8: 7E48B724
	v_cvt_f32_bf16_e32 v38, v38                                // 0000000035BC: 7E4CB726
	v_cvt_f32_bf16_e32 v37, v37                                // 0000000035C0: 7E4AB725
	v_cvt_f32_bf16_e32 v39, v39                                // 0000000035C4: 7E4EB727
	v_fma_f32 v40, v36, v38, v40                               // 0000000035C8: D1CB0028 04A24D24
	v_fma_f32 v40, v37, v39, v40                               // 0000000035D0: D1CB0028 04A24F25
	v_and_b32_e32 v36, 0xffff, v12                             // 0000000035D8: 264818FF 0000FFFF
	v_lshrrev_b32_e32 v37, 16, v12                             // 0000000035E0: 204A1890
	v_and_b32_e32 v38, 0xffff, v24                             // 0000000035E4: 264C30FF 0000FFFF
	v_lshrrev_b32_e32 v39, 16, v24                             // 0000000035EC: 204E3090
	v_cvt_f32_bf16_e32 v36, v36                                // 0000000035F0: 7E48B724
	v_cvt_f32_bf16_e32 v38, v38                                // 0000000035F4: 7E4CB726
	v_cvt_f32_bf16_e32 v37, v37                                // 0000000035F8: 7E4AB725
	v_cvt_f32_bf16_e32 v39, v39                                // 0000000035FC: 7E4EB727
	v_fma_f32 v40, v36, v38, v40                               // 000000003600: D1CB0028 04A24D24
	v_fma_f32 v40, v37, v39, v40                               // 000000003608: D1CB0028 04A24F25
	v_and_b32_e32 v36, 0xffff, v13                             // 000000003610: 26481AFF 0000FFFF
	v_lshrrev_b32_e32 v37, 16, v13                             // 000000003618: 204A1A90
	v_and_b32_e32 v38, 0xffff, v25                             // 00000000361C: 264C32FF 0000FFFF
	v_lshrrev_b32_e32 v39, 16, v25                             // 000000003624: 204E3290
	v_cvt_f32_bf16_e32 v36, v36                                // 000000003628: 7E48B724
	v_cvt_f32_bf16_e32 v38, v38                                // 00000000362C: 7E4CB726
	v_cvt_f32_bf16_e32 v37, v37                                // 000000003630: 7E4AB725
	v_cvt_f32_bf16_e32 v39, v39                                // 000000003634: 7E4EB727
	v_fma_f32 v40, v36, v38, v40                               // 000000003638: D1CB0028 04A24D24
	v_fma_f32 v40, v37, v39, v40                               // 000000003640: D1CB0028 04A24F25
	ds_write_b32 v32, v40                                      // 000000003648: D81A0000 00002820
	s_waitcnt lgkmcnt(0)                                       // 000000003650: BF8CC07F
	s_mov_b64 exec, s[48:49]                                   // 000000003654: BEFE0130
	ds_read_b128 v[36:39], v34                                 // 000000003658: D9FE0000 24000022
	s_waitcnt lgkmcnt(0)                                       // 000000003660: BF8CC07F
	ds_read_b128 v[40:43], v35                                 // 000000003664: D9FE0000 28000023
	s_waitcnt lgkmcnt(0)                                       // 00000000366C: BF8CC07F
	v_add_f32_e32 v30, v36, v30                                // 000000003670: 023C3D24
	v_add_f32_e32 v30, v37, v30                                // 000000003674: 023C3D25
	v_add_f32_e32 v30, v38, v30                                // 000000003678: 023C3D26
	v_add_f32_e32 v30, v39, v30                                // 00000000367C: 023C3D27
	v_add_f32_e32 v30, v40, v30                                // 000000003680: 023C3D28
	v_add_f32_e32 v30, v41, v30                                // 000000003684: 023C3D29
	v_add_f32_e32 v30, v42, v30                                // 000000003688: 023C3D2A
	v_add_f32_e32 v30, v43, v30                                // 00000000368C: 023C3D2B
	s_mov_b64 exec, -1                                         // 000000003690: BEFE01C1
	s_waitcnt vmcnt(0) expcnt(0) lgkmcnt(0)                    // 000000003694: BF8C0000
	s_barrier                                                  // 000000003698: BF8A0000
	v_mov_b32_e32 v40, 0                                       // 00000000369C: 7E500280
	v_and_b32_e32 v36, 0xffff, v14                             // 0000000036A0: 26481CFF 0000FFFF
	v_lshrrev_b32_e32 v37, 16, v14                             // 0000000036A8: 204A1C90
	v_and_b32_e32 v38, 0xffff, v26                             // 0000000036AC: 264C34FF 0000FFFF
	v_lshrrev_b32_e32 v39, 16, v26                             // 0000000036B4: 204E3490
	v_cvt_f32_bf16_e32 v36, v36                                // 0000000036B8: 7E48B724
	v_cvt_f32_bf16_e32 v38, v38                                // 0000000036BC: 7E4CB726
	v_cvt_f32_bf16_e32 v37, v37                                // 0000000036C0: 7E4AB725
	v_cvt_f32_bf16_e32 v39, v39                                // 0000000036C4: 7E4EB727
	v_fma_f32 v40, v36, v38, v40                               // 0000000036C8: D1CB0028 04A24D24
	v_fma_f32 v40, v37, v39, v40                               // 0000000036D0: D1CB0028 04A24F25
	v_and_b32_e32 v36, 0xffff, v15                             // 0000000036D8: 26481EFF 0000FFFF
	v_lshrrev_b32_e32 v37, 16, v15                             // 0000000036E0: 204A1E90
	v_and_b32_e32 v38, 0xffff, v27                             // 0000000036E4: 264C36FF 0000FFFF
	v_lshrrev_b32_e32 v39, 16, v27                             // 0000000036EC: 204E3690
	v_cvt_f32_bf16_e32 v36, v36                                // 0000000036F0: 7E48B724
	v_cvt_f32_bf16_e32 v38, v38                                // 0000000036F4: 7E4CB726
	v_cvt_f32_bf16_e32 v37, v37                                // 0000000036F8: 7E4AB725
	v_cvt_f32_bf16_e32 v39, v39                                // 0000000036FC: 7E4EB727
	v_fma_f32 v40, v36, v38, v40                               // 000000003700: D1CB0028 04A24D24
	v_fma_f32 v40, v37, v39, v40                               // 000000003708: D1CB0028 04A24F25
	v_and_b32_e32 v36, 0xffff, v16                             // 000000003710: 264820FF 0000FFFF
	v_lshrrev_b32_e32 v37, 16, v16                             // 000000003718: 204A2090
	v_and_b32_e32 v38, 0xffff, v28                             // 00000000371C: 264C38FF 0000FFFF
	v_lshrrev_b32_e32 v39, 16, v28                             // 000000003724: 204E3890
	v_cvt_f32_bf16_e32 v36, v36                                // 000000003728: 7E48B724
	v_cvt_f32_bf16_e32 v38, v38                                // 00000000372C: 7E4CB726
	v_cvt_f32_bf16_e32 v37, v37                                // 000000003730: 7E4AB725
	v_cvt_f32_bf16_e32 v39, v39                                // 000000003734: 7E4EB727
	v_fma_f32 v40, v36, v38, v40                               // 000000003738: D1CB0028 04A24D24
	v_fma_f32 v40, v37, v39, v40                               // 000000003740: D1CB0028 04A24F25
	v_and_b32_e32 v36, 0xffff, v17                             // 000000003748: 264822FF 0000FFFF
	v_lshrrev_b32_e32 v37, 16, v17                             // 000000003750: 204A2290
	v_and_b32_e32 v38, 0xffff, v29                             // 000000003754: 264C3AFF 0000FFFF
	v_lshrrev_b32_e32 v39, 16, v29                             // 00000000375C: 204E3A90
	v_cvt_f32_bf16_e32 v36, v36                                // 000000003760: 7E48B724
	v_cvt_f32_bf16_e32 v38, v38                                // 000000003764: 7E4CB726
	v_cvt_f32_bf16_e32 v37, v37                                // 000000003768: 7E4AB725
	v_cvt_f32_bf16_e32 v39, v39                                // 00000000376C: 7E4EB727
	v_fma_f32 v40, v36, v38, v40                               // 000000003770: D1CB0028 04A24D24
	v_fma_f32 v40, v37, v39, v40                               // 000000003778: D1CB0028 04A24F25
	ds_write_b32 v32, v40                                      // 000000003780: D81A0000 00002820
	s_waitcnt lgkmcnt(0)                                       // 000000003788: BF8CC07F
	s_mov_b64 exec, s[48:49]                                   // 00000000378C: BEFE0130
	ds_read_b128 v[36:39], v34                                 // 000000003790: D9FE0000 24000022
	s_waitcnt lgkmcnt(0)                                       // 000000003798: BF8CC07F
	ds_read_b128 v[40:43], v35                                 // 00000000379C: D9FE0000 28000023
	s_waitcnt lgkmcnt(0)                                       // 0000000037A4: BF8CC07F
	v_add_f32_e32 v30, v36, v30                                // 0000000037A8: 023C3D24
	v_add_f32_e32 v30, v37, v30                                // 0000000037AC: 023C3D25
	v_add_f32_e32 v30, v38, v30                                // 0000000037B0: 023C3D26
	v_add_f32_e32 v30, v39, v30                                // 0000000037B4: 023C3D27
	v_add_f32_e32 v30, v40, v30                                // 0000000037B8: 023C3D28
	v_add_f32_e32 v30, v41, v30                                // 0000000037BC: 023C3D29
	v_add_f32_e32 v30, v42, v30                                // 0000000037C0: 023C3D2A
	v_add_f32_e32 v30, v43, v30                                // 0000000037C4: 023C3D2B
	s_mov_b64 exec, -1                                         // 0000000037C8: BEFE01C1
	s_mov_b64 exec, s[38:39]                                   // 0000000037CC: BEFE0126
	buffer_store_dword v30, v5, s[16:19], 0 offen              // 0000000037D0: E0701000 80041E05
	s_waitcnt vmcnt(0) expcnt(0) lgkmcnt(0)                    // 0000000037D8: BF8C0000
	s_endpgm                                                   // 0000000037DC: BF810000
